;; amdgpu-corpus repo=ROCm/rocFFT kind=compiled arch=gfx1201 opt=O3
	.text
	.amdgcn_target "amdgcn-amd-amdhsa--gfx1201"
	.amdhsa_code_object_version 6
	.protected	bluestein_single_back_len576_dim1_sp_op_CI_CI ; -- Begin function bluestein_single_back_len576_dim1_sp_op_CI_CI
	.globl	bluestein_single_back_len576_dim1_sp_op_CI_CI
	.p2align	8
	.type	bluestein_single_back_len576_dim1_sp_op_CI_CI,@function
bluestein_single_back_len576_dim1_sp_op_CI_CI: ; @bluestein_single_back_len576_dim1_sp_op_CI_CI
; %bb.0:
	s_load_b128 s[8:11], s[0:1], 0x28
	v_mul_u32_u24_e32 v1, 0x2ab, v0
	s_mov_b32 s2, exec_lo
	v_mov_b32_e32 v49, 0
	s_delay_alu instid0(VALU_DEP_2) | instskip(NEXT) | instid1(VALU_DEP_1)
	v_lshrrev_b32_e32 v1, 16, v1
	v_add_nc_u32_e32 v48, ttmp9, v1
	s_wait_kmcnt 0x0
	s_delay_alu instid0(VALU_DEP_1)
	v_cmpx_gt_u64_e64 s[8:9], v[48:49]
	s_cbranch_execz .LBB0_15
; %bb.1:
	s_clause 0x1
	s_load_b64 s[8:9], s[0:1], 0x0
	s_load_b64 s[12:13], s[0:1], 0x38
	v_mul_lo_u16 v1, 0x60, v1
	s_delay_alu instid0(VALU_DEP_1) | instskip(NEXT) | instid1(VALU_DEP_1)
	v_sub_nc_u16 v0, v0, v1
	v_and_b32_e32 v54, 0xffff, v0
	v_cmp_gt_u16_e32 vcc_lo, 36, v0
	s_delay_alu instid0(VALU_DEP_2)
	v_lshlrev_b32_e32 v53, 3, v54
	s_and_saveexec_b32 s3, vcc_lo
	s_cbranch_execz .LBB0_3
; %bb.2:
	s_load_b64 s[4:5], s[0:1], 0x18
	s_wait_kmcnt 0x0
	s_load_b128 s[4:7], s[4:5], 0x0
	s_wait_kmcnt 0x0
	v_mad_co_u64_u32 v[0:1], null, s6, v48, 0
	v_mad_co_u64_u32 v[2:3], null, s4, v54, 0
	s_delay_alu instid0(VALU_DEP_1) | instskip(NEXT) | instid1(VALU_DEP_1)
	v_mad_co_u64_u32 v[4:5], null, s7, v48, v[1:2]
	v_mad_co_u64_u32 v[5:6], null, s5, v54, v[3:4]
	v_mov_b32_e32 v1, v4
	s_mul_u64 s[4:5], s[4:5], 0x120
	s_delay_alu instid0(VALU_DEP_1) | instskip(NEXT) | instid1(VALU_DEP_3)
	v_lshlrev_b64_e32 v[0:1], 3, v[0:1]
	v_mov_b32_e32 v3, v5
	s_clause 0x3
	global_load_b64 v[4:5], v53, s[8:9]
	global_load_b64 v[6:7], v53, s[8:9] offset:288
	global_load_b64 v[8:9], v53, s[8:9] offset:576
	;; [unrolled: 1-line block ×3, first 2 shown]
	v_add_co_u32 v18, s2, s10, v0
	v_lshlrev_b64_e32 v[2:3], 3, v[2:3]
	v_add_co_ci_u32_e64 v19, s2, s11, v1, s2
	s_clause 0x9
	global_load_b64 v[0:1], v53, s[8:9] offset:1152
	global_load_b64 v[12:13], v53, s[8:9] offset:1440
	;; [unrolled: 1-line block ×10, first 2 shown]
	v_add_co_u32 v2, s2, v18, v2
	s_wait_alu 0xf1ff
	v_add_co_ci_u32_e64 v3, s2, v19, v3, s2
	s_wait_alu 0xfffe
	s_delay_alu instid0(VALU_DEP_2) | instskip(SKIP_1) | instid1(VALU_DEP_2)
	v_add_co_u32 v18, s2, v2, s4
	s_wait_alu 0xf1ff
	v_add_co_ci_u32_e64 v19, s2, s5, v3, s2
	global_load_b64 v[2:3], v[2:3], off
	v_add_co_u32 v28, s2, v18, s4
	s_wait_alu 0xf1ff
	v_add_co_ci_u32_e64 v29, s2, s5, v19, s2
	s_delay_alu instid0(VALU_DEP_2) | instskip(SKIP_1) | instid1(VALU_DEP_2)
	v_add_co_u32 v34, s2, v28, s4
	s_wait_alu 0xf1ff
	v_add_co_ci_u32_e64 v35, s2, s5, v29, s2
	s_delay_alu instid0(VALU_DEP_2) | instskip(SKIP_1) | instid1(VALU_DEP_2)
	v_add_co_u32 v36, s2, v34, s4
	s_wait_alu 0xf1ff
	v_add_co_ci_u32_e64 v37, s2, s5, v35, s2
	s_clause 0x2
	global_load_b64 v[18:19], v[18:19], off
	global_load_b64 v[28:29], v[28:29], off
	;; [unrolled: 1-line block ×3, first 2 shown]
	v_add_co_u32 v38, s2, v36, s4
	s_wait_alu 0xf1ff
	v_add_co_ci_u32_e64 v39, s2, s5, v37, s2
	global_load_b64 v[36:37], v[36:37], off
	v_add_co_u32 v40, s2, v38, s4
	s_wait_alu 0xf1ff
	v_add_co_ci_u32_e64 v41, s2, s5, v39, s2
	global_load_b64 v[38:39], v[38:39], off
	;; [unrolled: 4-line block ×11, first 2 shown]
	s_clause 0x1
	global_load_b64 v[63:64], v53, s[8:9] offset:4032
	global_load_b64 v[65:66], v53, s[8:9] offset:4320
	global_load_b64 v[61:62], v[61:62], off
	v_add_nc_u32_e32 v69, 0x800, v53
	s_wait_loadcnt 0x11
	v_mul_f32_e32 v67, v3, v5
	v_mul_f32_e32 v5, v2, v5
	s_delay_alu instid0(VALU_DEP_2) | instskip(NEXT) | instid1(VALU_DEP_2)
	v_fmac_f32_e32 v67, v2, v4
	v_fma_f32 v68, v3, v4, -v5
	s_wait_loadcnt 0x10
	v_mul_f32_e32 v2, v19, v7
	s_wait_loadcnt 0xf
	v_dual_mul_f32 v4, v29, v9 :: v_dual_mul_f32 v3, v18, v7
	v_mul_f32_e32 v5, v28, v9
	s_wait_loadcnt 0xe
	v_dual_mul_f32 v7, v35, v11 :: v_dual_fmac_f32 v2, v18, v6
	s_delay_alu instid0(VALU_DEP_3) | instskip(SKIP_4) | instid1(VALU_DEP_3)
	v_fmac_f32_e32 v4, v28, v8
	v_fma_f32 v3, v19, v6, -v3
	v_mul_f32_e32 v6, v34, v11
	v_fma_f32 v5, v29, v8, -v5
	v_fmac_f32_e32 v7, v34, v10
	v_fma_f32 v8, v35, v10, -v6
	ds_store_2addr_b64 v53, v[67:68], v[2:3] offset1:36
	ds_store_2addr_b64 v53, v[4:5], v[7:8] offset0:72 offset1:108
	s_wait_loadcnt 0xa
	v_mul_f32_e32 v2, v43, v17
	v_mul_f32_e32 v3, v42, v17
	s_wait_loadcnt 0x9
	v_mul_f32_e32 v4, v45, v21
	v_mul_f32_e32 v9, v37, v1
	v_dual_mul_f32 v1, v36, v1 :: v_dual_fmac_f32 v2, v42, v16
	s_wait_loadcnt 0x8
	v_mul_f32_e32 v6, v47, v23
	v_dual_mul_f32 v11, v39, v13 :: v_dual_fmac_f32 v4, v44, v20
	v_fmac_f32_e32 v9, v36, v0
	v_fma_f32 v10, v37, v0, -v1
	s_wait_loadcnt 0x7
	v_mul_f32_e32 v8, v50, v25
	v_mul_f32_e32 v13, v38, v13
	v_fmac_f32_e32 v6, v46, v22
	v_dual_fmac_f32 v11, v38, v12 :: v_dual_mul_f32 v0, v41, v15
	s_delay_alu instid0(VALU_DEP_4) | instskip(NEXT) | instid1(VALU_DEP_4)
	v_fmac_f32_e32 v8, v49, v24
	v_fma_f32 v12, v39, v12, -v13
	s_wait_loadcnt 0x5
	s_delay_alu instid0(VALU_DEP_3)
	v_dual_fmac_f32 v0, v40, v14 :: v_dual_mul_f32 v13, v55, v31
	ds_store_2addr_b64 v53, v[9:10], v[11:12] offset0:144 offset1:180
	v_mul_f32_e32 v10, v52, v27
	v_mul_f32_e32 v1, v40, v15
	;; [unrolled: 1-line block ×4, first 2 shown]
	s_delay_alu instid0(VALU_DEP_4) | instskip(NEXT) | instid1(VALU_DEP_4)
	v_dual_mul_f32 v5, v44, v21 :: v_dual_fmac_f32 v10, v51, v26
	v_fma_f32 v1, v41, v14, -v1
	s_wait_loadcnt 0x4
	v_mul_f32_e32 v14, v58, v33
	v_dual_fmac_f32 v12, v55, v30 :: v_dual_mul_f32 v7, v46, v23
	v_mul_f32_e32 v9, v49, v25
	v_fma_f32 v3, v43, v16, -v3
	s_wait_loadcnt 0x2
	v_dual_mul_f32 v16, v60, v64 :: v_dual_mul_f32 v15, v57, v33
	s_wait_loadcnt 0x0
	v_dual_mul_f32 v18, v62, v66 :: v_dual_mul_f32 v17, v59, v64
	v_mul_f32_e32 v19, v61, v66
	v_fma_f32 v5, v45, v20, -v5
	v_add_nc_u32_e32 v20, 0xc00, v53
	v_fmac_f32_e32 v14, v57, v32
	v_fma_f32 v7, v47, v22, -v7
	v_fma_f32 v9, v50, v24, -v9
	;; [unrolled: 1-line block ×4, first 2 shown]
	v_fmac_f32_e32 v16, v59, v63
	v_fma_f32 v15, v58, v32, -v15
	v_fmac_f32_e32 v18, v61, v65
	v_fma_f32 v17, v60, v63, -v17
	v_fma_f32 v19, v62, v65, -v19
	ds_store_2addr_b64 v53, v[0:1], v[2:3] offset0:216 offset1:252
	ds_store_2addr_b64 v69, v[4:5], v[6:7] offset0:32 offset1:68
	;; [unrolled: 1-line block ×5, first 2 shown]
.LBB0_3:
	s_or_b32 exec_lo, exec_lo, s3
	s_load_b64 s[2:3], s[0:1], 0x20
	global_wb scope:SCOPE_SE
	s_wait_dscnt 0x0
	s_wait_kmcnt 0x0
	s_barrier_signal -1
	s_barrier_wait -1
	global_inv scope:SCOPE_SE
                                        ; implicit-def: $vgpr14
                                        ; implicit-def: $vgpr26
                                        ; implicit-def: $vgpr22
                                        ; implicit-def: $vgpr30
                                        ; implicit-def: $vgpr18
                                        ; implicit-def: $vgpr10
                                        ; implicit-def: $vgpr6
                                        ; implicit-def: $vgpr2
	s_and_saveexec_b32 s4, vcc_lo
	s_cbranch_execz .LBB0_5
; %bb.4:
	v_add_nc_u32_e32 v12, 0x800, v53
	v_add_nc_u32_e32 v13, 0xc00, v53
	ds_load_2addr_b64 v[0:3], v53 offset1:36
	ds_load_2addr_b64 v[4:7], v53 offset0:72 offset1:108
	ds_load_2addr_b64 v[8:11], v53 offset0:144 offset1:180
	;; [unrolled: 1-line block ×7, first 2 shown]
.LBB0_5:
	s_wait_alu 0xfffe
	s_or_b32 exec_lo, exec_lo, s4
	s_wait_dscnt 0x3
	v_dual_sub_f32 v28, v0, v28 :: v_dual_sub_f32 v29, v1, v29
	s_wait_dscnt 0x1
	v_dual_sub_f32 v24, v8, v24 :: v_dual_sub_f32 v25, v9, v25
	v_dual_sub_f32 v20, v4, v20 :: v_dual_sub_f32 v21, v5, v21
	s_wait_dscnt 0x0
	v_dual_sub_f32 v12, v16, v12 :: v_dual_sub_f32 v13, v17, v13
	v_fma_f32 v0, v0, 2.0, -v28
	v_fma_f32 v8, v8, 2.0, -v24
	v_fma_f32 v4, v4, 2.0, -v20
	v_dual_sub_f32 v30, v2, v30 :: v_dual_sub_f32 v31, v3, v31
	v_fma_f32 v16, v16, 2.0, -v12
	v_dual_sub_f32 v26, v10, v26 :: v_dual_sub_f32 v27, v11, v27
	v_dual_sub_f32 v22, v6, v22 :: v_dual_sub_f32 v23, v7, v23
	;; [unrolled: 1-line block ×3, first 2 shown]
	v_fma_f32 v1, v1, 2.0, -v29
	v_fma_f32 v9, v9, 2.0, -v25
	;; [unrolled: 1-line block ×11, first 2 shown]
	v_dual_sub_f32 v32, v0, v8 :: v_dual_sub_f32 v9, v1, v9
	v_fma_f32 v8, v19, 2.0, -v15
	v_dual_sub_f32 v19, v28, v25 :: v_dual_sub_f32 v34, v2, v10
	v_dual_add_f32 v24, v24, v29 :: v_dual_sub_f32 v35, v3, v11
	v_dual_sub_f32 v16, v4, v16 :: v_dual_sub_f32 v17, v5, v17
	v_dual_sub_f32 v13, v20, v13 :: v_dual_add_f32 v26, v26, v31
	v_add_f32_e32 v12, v12, v21
	v_fma_f32 v25, v0, 2.0, -v32
	v_fma_f32 v28, v28, 2.0, -v19
	;; [unrolled: 1-line block ×6, first 2 shown]
	v_sub_f32_e32 v21, v30, v27
	v_sub_f32_e32 v18, v6, v18
	v_dual_sub_f32 v36, v7, v8 :: v_dual_sub_f32 v15, v22, v15
	v_fma_f32 v33, v1, 2.0, -v9
	v_fma_f32 v1, v5, 2.0, -v17
	;; [unrolled: 1-line block ×7, first 2 shown]
	v_dual_fmamk_f32 v3, v10, 0xbf3504f3, v28 :: v_dual_sub_f32 v0, v25, v0
	v_fmamk_f32 v5, v11, 0xbf3504f3, v29
	v_fma_f32 v37, v6, 2.0, -v18
	v_dual_add_f32 v14, v14, v23 :: v_dual_fmamk_f32 v39, v13, 0x3f3504f3, v19
	v_sub_f32_e32 v40, v32, v17
	v_fmamk_f32 v42, v12, 0x3f3504f3, v24
	v_fma_f32 v31, v31, 2.0, -v26
	v_dual_sub_f32 v4, v33, v1 :: v_dual_fmac_f32 v3, 0xbf3504f3, v11
	v_fma_f32 v1, v25, 2.0, -v0
	v_fmac_f32_e32 v5, 0x3f3504f3, v10
	v_fma_f32 v23, v23, 2.0, -v14
	v_add_f32_e32 v41, v16, v9
	v_dual_fmac_f32 v39, 0xbf3504f3, v12 :: v_dual_fmamk_f32 v12, v22, 0xbf3504f3, v30
	v_dual_sub_f32 v25, v27, v38 :: v_dual_fmac_f32 v42, 0x3f3504f3, v13
	v_sub_f32_e32 v13, v20, v37
	s_delay_alu instid0(VALU_DEP_4) | instskip(SKIP_2) | instid1(VALU_DEP_4)
	v_fma_f32 v9, v9, 2.0, -v41
	v_dual_fmamk_f32 v37, v23, 0xbf3504f3, v31 :: v_dual_sub_f32 v36, v34, v36
	v_fmac_f32_e32 v12, 0xbf3504f3, v23
	v_fma_f32 v16, v20, 2.0, -v13
	v_dual_fmamk_f32 v20, v15, 0x3f3504f3, v21 :: v_dual_fmamk_f32 v23, v14, 0x3f3504f3, v26
	v_add_f32_e32 v38, v18, v35
	v_fma_f32 v2, v33, 2.0, -v4
	v_fma_f32 v7, v32, 2.0, -v40
	;; [unrolled: 1-line block ×3, first 2 shown]
	v_fmac_f32_e32 v37, 0x3f3504f3, v22
	v_fma_f32 v11, v24, 2.0, -v42
	v_fmac_f32_e32 v20, 0xbf3504f3, v14
	v_fma_f32 v24, v35, 2.0, -v38
	v_dual_sub_f32 v17, v2, v17 :: v_dual_sub_f32 v16, v1, v16
	v_fmac_f32_e32 v23, 0x3f3504f3, v15
	v_fma_f32 v15, v34, 2.0, -v36
	s_load_b64 s[4:5], s[0:1], 0x8
	v_fma_f32 v6, v28, 2.0, -v3
	v_fma_f32 v8, v29, 2.0, -v5
	;; [unrolled: 1-line block ×5, first 2 shown]
	v_fmamk_f32 v28, v15, 0xbf3504f3, v7
	v_fmamk_f32 v29, v24, 0xbf3504f3, v9
	v_fma_f32 v14, v31, 2.0, -v37
	v_fmamk_f32 v18, v22, 0xbf6c835e, v6
	v_fmamk_f32 v30, v21, 0xbec3ef15, v10
	v_fmac_f32_e32 v28, 0xbf3504f3, v24
	v_dual_fmac_f32 v29, 0x3f3504f3, v15 :: v_dual_fmamk_f32 v32, v36, 0x3f3504f3, v40
	v_sub_f32_e32 v24, v0, v25
	v_fma_f32 v26, v26, 2.0, -v23
	v_fmamk_f32 v33, v38, 0x3f3504f3, v41
	v_dual_fmamk_f32 v34, v20, 0x3f6c835e, v39 :: v_dual_fmamk_f32 v35, v23, 0x3f6c835e, v42
	v_fmamk_f32 v19, v14, 0xbf6c835e, v8
	s_delay_alu instid0(VALU_DEP_4)
	v_fmamk_f32 v31, v26, 0xbec3ef15, v11
	v_dual_fmac_f32 v30, 0xbf6c835e, v26 :: v_dual_add_f32 v25, v13, v4
	v_fmac_f32_e32 v18, 0xbec3ef15, v14
	v_fmamk_f32 v26, v12, 0x3ec3ef15, v3
	v_fmamk_f32 v27, v37, 0x3ec3ef15, v5
	v_fmac_f32_e32 v32, 0xbf3504f3, v38
	v_fmac_f32_e32 v33, 0x3f3504f3, v36
	;; [unrolled: 1-line block ×8, first 2 shown]
	v_fma_f32 v20, v40, 2.0, -v32
	v_fma_f32 v21, v41, 2.0, -v33
	;; [unrolled: 1-line block ×4, first 2 shown]
	v_lshlrev_b16 v55, 4, v54
	global_wb scope:SCOPE_SE
	s_wait_kmcnt 0x0
	s_barrier_signal -1
	s_barrier_wait -1
	global_inv scope:SCOPE_SE
	s_and_saveexec_b32 s0, vcc_lo
	s_cbranch_execz .LBB0_7
; %bb.6:
	v_fma_f32 v13, v3, 2.0, -v26
	v_fma_f32 v3, v9, 2.0, -v29
	v_and_b32_e32 v9, 0xffff, v55
	v_fma_f32 v39, v8, 2.0, -v19
	v_fma_f32 v38, v6, 2.0, -v18
	;; [unrolled: 1-line block ×4, first 2 shown]
	v_lshlrev_b32_e32 v1, 3, v9
	v_fma_f32 v14, v5, 2.0, -v27
	v_fma_f32 v12, v4, 2.0, -v25
	;; [unrolled: 1-line block ×6, first 2 shown]
	ds_store_b128 v1, v[36:39]
	ds_store_b128 v1, v[2:5] offset:16
	ds_store_b128 v1, v[11:14] offset:32
	;; [unrolled: 1-line block ×7, first 2 shown]
.LBB0_7:
	s_wait_alu 0xfffe
	s_or_b32 exec_lo, exec_lo, s0
	v_and_b32_e32 v40, 15, v54
	s_load_b128 s[0:3], s[2:3], 0x0
	global_wb scope:SCOPE_SE
	s_wait_dscnt 0x0
	s_wait_kmcnt 0x0
	s_barrier_signal -1
	s_barrier_wait -1
	v_mad_co_u64_u32 v[8:9], null, v40, 40, s[4:5]
	global_inv scope:SCOPE_SE
	v_lshrrev_b32_e32 v41, 4, v54
	s_clause 0x2
	global_load_b128 v[4:7], v[8:9], off
	global_load_b128 v[0:3], v[8:9], off offset:16
	global_load_b64 v[49:50], v[8:9], off offset:32
	v_add_nc_u32_e32 v58, 0x400, v53
	ds_load_2addr_b64 v[8:11], v53 offset1:96
	v_mul_u32_u24_e32 v41, 0x60, v41
	ds_load_2addr_b64 v[12:15], v58 offset0:64 offset1:160
	s_wait_loadcnt_dscnt 0x200
	v_dual_mul_f32 v44, v13, v7 :: v_dual_add_nc_u32 v57, 0x800, v53
	ds_load_2addr_b64 v[36:39], v57 offset0:128 offset1:224
	v_mul_f32_e32 v43, v10, v5
	v_or_b32_e32 v42, v41, v40
	v_mul_f32_e32 v45, v12, v7
	s_wait_loadcnt 0x1
	v_mul_f32_e32 v47, v14, v1
	v_mul_f32_e32 v46, v15, v1
	v_mad_co_u64_u32 v[40:41], null, v54, 40, s[4:5]
	v_fmac_f32_e32 v45, v13, v6
	v_lshlrev_b32_e32 v56, 3, v42
	v_mul_f32_e32 v42, v11, v5
	global_wb scope:SCOPE_SE
	s_wait_loadcnt_dscnt 0x0
	s_barrier_signal -1
	s_barrier_wait -1
	global_inv scope:SCOPE_SE
	v_fmac_f32_e32 v43, v11, v4
	v_fma_f32 v11, v14, v0, -v46
	v_mul_f32_e32 v51, v37, v3
	v_dual_mul_f32 v52, v36, v3 :: v_dual_mul_f32 v59, v39, v50
	v_mul_f32_e32 v60, v38, v50
	v_fma_f32 v42, v10, v4, -v42
	v_fma_f32 v10, v12, v6, -v44
	;; [unrolled: 1-line block ×3, first 2 shown]
	v_dual_fmac_f32 v47, v15, v0 :: v_dual_fmac_f32 v52, v37, v2
	v_fmac_f32_e32 v60, v39, v49
	v_fma_f32 v13, v38, v49, -v59
	s_delay_alu instid0(VALU_DEP_4) | instskip(SKIP_3) | instid1(VALU_DEP_4)
	v_dual_add_f32 v15, v10, v12 :: v_dual_add_f32 v14, v8, v10
	v_add_f32_e32 v37, v9, v45
	v_dual_sub_f32 v36, v45, v52 :: v_dual_add_f32 v39, v42, v11
	v_add_f32_e32 v38, v45, v52
	v_fma_f32 v51, -0.5, v15, v8
	v_sub_f32_e32 v10, v10, v12
	v_add_f32_e32 v46, v43, v47
	v_add_f32_e32 v12, v14, v12
	s_delay_alu instid0(VALU_DEP_4) | instskip(NEXT) | instid1(VALU_DEP_3)
	v_dual_add_f32 v14, v37, v52 :: v_dual_fmamk_f32 v37, v36, 0x3f5db3d7, v51
	v_dual_add_f32 v44, v11, v13 :: v_dual_add_f32 v15, v46, v60
	v_sub_f32_e32 v11, v11, v13
	v_fma_f32 v52, -0.5, v38, v9
	v_add_f32_e32 v13, v39, v13
	v_sub_f32_e32 v45, v47, v60
	v_fmac_f32_e32 v42, -0.5, v44
	s_delay_alu instid0(VALU_DEP_4) | instskip(SKIP_2) | instid1(VALU_DEP_4)
	v_fmamk_f32 v39, v10, 0xbf5db3d7, v52
	v_dual_fmac_f32 v52, 0x3f5db3d7, v10 :: v_dual_add_f32 v47, v47, v60
	v_fmac_f32_e32 v51, 0xbf5db3d7, v36
	v_dual_fmamk_f32 v36, v45, 0x3f5db3d7, v42 :: v_dual_add_f32 v9, v14, v15
	s_delay_alu instid0(VALU_DEP_3) | instskip(NEXT) | instid1(VALU_DEP_1)
	v_fmac_f32_e32 v43, -0.5, v47
	v_fmamk_f32 v38, v11, 0xbf5db3d7, v43
	v_fmac_f32_e32 v43, 0x3f5db3d7, v11
	v_fmac_f32_e32 v42, 0xbf5db3d7, v45
	v_dual_add_f32 v8, v12, v13 :: v_dual_sub_f32 v11, v14, v15
	s_delay_alu instid0(VALU_DEP_3) | instskip(NEXT) | instid1(VALU_DEP_3)
	v_dual_mul_f32 v44, 0x3f5db3d7, v38 :: v_dual_mul_f32 v47, -0.5, v43
	v_dual_mul_f32 v46, 0xbf5db3d7, v36 :: v_dual_mul_f32 v45, -0.5, v42
	v_sub_f32_e32 v10, v12, v13
	s_delay_alu instid0(VALU_DEP_3) | instskip(NEXT) | instid1(VALU_DEP_3)
	v_dual_fmac_f32 v44, 0.5, v36 :: v_dual_fmac_f32 v47, 0xbf5db3d7, v42
	v_dual_fmac_f32 v46, 0.5, v38 :: v_dual_fmac_f32 v45, 0x3f5db3d7, v43
	s_delay_alu instid0(VALU_DEP_2) | instskip(NEXT) | instid1(VALU_DEP_2)
	v_dual_add_f32 v15, v52, v47 :: v_dual_add_f32 v12, v37, v44
	v_add_f32_e32 v13, v39, v46
	s_delay_alu instid0(VALU_DEP_3)
	v_add_f32_e32 v14, v51, v45
	v_dual_sub_f32 v36, v37, v44 :: v_dual_sub_f32 v37, v39, v46
	v_dual_sub_f32 v38, v51, v45 :: v_dual_sub_f32 v39, v52, v47
	ds_store_2addr_b64 v56, v[8:9], v[12:13] offset1:16
	ds_store_2addr_b64 v56, v[14:15], v[10:11] offset0:32 offset1:48
	ds_store_2addr_b64 v56, v[36:37], v[38:39] offset0:64 offset1:80
	global_wb scope:SCOPE_SE
	s_wait_dscnt 0x0
	s_barrier_signal -1
	s_barrier_wait -1
	global_inv scope:SCOPE_SE
	s_clause 0x2
	global_load_b128 v[12:15], v[40:41], off offset:640
	global_load_b128 v[8:11], v[40:41], off offset:656
	global_load_b64 v[51:52], v[40:41], off offset:672
	ds_load_2addr_b64 v[36:39], v53 offset1:96
	ds_load_2addr_b64 v[40:43], v58 offset0:64 offset1:160
	ds_load_2addr_b64 v[44:47], v57 offset0:128 offset1:224
	s_wait_loadcnt_dscnt 0x201
	v_mul_f32_e32 v61, v41, v15
	v_dual_mul_f32 v59, v39, v13 :: v_dual_mul_f32 v62, v40, v15
	s_wait_loadcnt_dscnt 0x100
	v_dual_mul_f32 v60, v38, v13 :: v_dual_mul_f32 v65, v45, v11
	v_dual_mul_f32 v63, v43, v9 :: v_dual_mul_f32 v66, v44, v11
	s_wait_loadcnt 0x0
	v_dual_mul_f32 v64, v42, v9 :: v_dual_mul_f32 v67, v47, v52
	v_fma_f32 v38, v38, v12, -v59
	v_fmac_f32_e32 v62, v41, v14
	v_fmac_f32_e32 v66, v45, v10
	;; [unrolled: 1-line block ×3, first 2 shown]
	v_fma_f32 v39, v40, v14, -v61
	v_fma_f32 v40, v42, v8, -v63
	v_mul_f32_e32 v68, v46, v52
	v_fma_f32 v41, v44, v10, -v65
	v_fma_f32 v42, v46, v51, -v67
	s_delay_alu instid0(VALU_DEP_4) | instskip(SKIP_1) | instid1(VALU_DEP_3)
	v_add_f32_e32 v59, v38, v40
	v_dual_fmac_f32 v64, v43, v8 :: v_dual_add_f32 v43, v36, v39
	v_dual_fmac_f32 v68, v47, v51 :: v_dual_add_f32 v61, v40, v42
	v_add_f32_e32 v44, v39, v41
	v_sub_f32_e32 v39, v39, v41
	v_sub_f32_e32 v45, v62, v66
	v_dual_add_f32 v46, v37, v62 :: v_dual_add_f32 v41, v43, v41
	v_add_f32_e32 v47, v62, v66
	v_add_f32_e32 v63, v60, v64
	v_sub_f32_e32 v40, v40, v42
	v_fma_f32 v43, -0.5, v44, v36
	v_sub_f32_e32 v62, v64, v68
	v_add_f32_e32 v64, v64, v68
	v_fma_f32 v65, -0.5, v47, v37
	v_add_f32_e32 v44, v46, v66
	v_add_f32_e32 v42, v59, v42
	v_dual_add_f32 v47, v63, v68 :: v_dual_fmac_f32 v38, -0.5, v61
	v_fmamk_f32 v59, v45, 0x3f5db3d7, v43
	v_fmac_f32_e32 v43, 0xbf5db3d7, v45
	v_fmamk_f32 v61, v39, 0xbf5db3d7, v65
	s_delay_alu instid0(VALU_DEP_4) | instskip(SKIP_3) | instid1(VALU_DEP_2)
	v_add_f32_e32 v37, v44, v47
	v_fmac_f32_e32 v65, 0x3f5db3d7, v39
	v_dual_fmamk_f32 v39, v62, 0x3f5db3d7, v38 :: v_dual_add_f32 v36, v41, v42
	v_dual_fmac_f32 v60, -0.5, v64 :: v_dual_sub_f32 v47, v44, v47
	v_dual_sub_f32 v46, v41, v42 :: v_dual_mul_f32 v63, 0xbf5db3d7, v39
	v_fmac_f32_e32 v38, 0xbf5db3d7, v62
	s_delay_alu instid0(VALU_DEP_3) | instskip(SKIP_1) | instid1(VALU_DEP_2)
	v_fmamk_f32 v45, v40, 0xbf5db3d7, v60
	v_fmac_f32_e32 v60, 0x3f5db3d7, v40
	v_dual_mul_f32 v62, -0.5, v38 :: v_dual_fmac_f32 v63, 0.5, v45
	v_mul_f32_e32 v40, 0x3f5db3d7, v45
	s_delay_alu instid0(VALU_DEP_3) | instskip(NEXT) | instid1(VALU_DEP_3)
	v_mul_f32_e32 v64, -0.5, v60
	v_dual_fmac_f32 v62, 0x3f5db3d7, v60 :: v_dual_sub_f32 v41, v61, v63
	s_delay_alu instid0(VALU_DEP_2) | instskip(NEXT) | instid1(VALU_DEP_4)
	v_fmac_f32_e32 v64, 0xbf5db3d7, v38
	v_fmac_f32_e32 v40, 0.5, v39
	s_delay_alu instid0(VALU_DEP_3) | instskip(NEXT) | instid1(VALU_DEP_3)
	v_dual_add_f32 v44, v43, v62 :: v_dual_add_f32 v39, v61, v63
	v_dual_sub_f32 v42, v43, v62 :: v_dual_sub_f32 v43, v65, v64
	v_add_f32_e32 v45, v65, v64
	s_delay_alu instid0(VALU_DEP_4)
	v_add_f32_e32 v38, v59, v40
	v_sub_f32_e32 v40, v59, v40
	ds_store_2addr_b64 v53, v[36:37], v[38:39] offset1:96
	ds_store_2addr_b64 v58, v[44:45], v[46:47] offset0:64 offset1:160
	ds_store_2addr_b64 v57, v[40:41], v[42:43] offset0:128 offset1:224
	global_wb scope:SCOPE_SE
	s_wait_dscnt 0x0
	s_barrier_signal -1
	s_barrier_wait -1
	global_inv scope:SCOPE_SE
	s_and_saveexec_b32 s6, vcc_lo
	s_cbranch_execz .LBB0_9
; %bb.8:
	s_add_nc_u64 s[4:5], s[8:9], 0x1200
	s_clause 0xf
	global_load_b64 v[62:63], v53, s[8:9] offset:4608
	global_load_b64 v[64:65], v53, s[4:5] offset:288
	;; [unrolled: 1-line block ×16, first 2 shown]
	ds_load_2addr_b64 v[58:61], v53 offset1:36
	s_wait_loadcnt_dscnt 0xe00
	v_dual_mul_f32 v67, v59, v63 :: v_dual_mul_f32 v68, v61, v65
	v_dual_mul_f32 v66, v58, v63 :: v_dual_mul_f32 v63, v60, v65
	s_delay_alu instid0(VALU_DEP_2) | instskip(NEXT) | instid1(VALU_DEP_2)
	v_fma_f32 v65, v58, v62, -v67
	v_dual_fmac_f32 v66, v59, v62 :: v_dual_fmac_f32 v63, v61, v64
	s_delay_alu instid0(VALU_DEP_4)
	v_fma_f32 v62, v60, v64, -v68
	ds_store_2addr_b64 v53, v[65:66], v[62:63] offset1:36
	ds_load_2addr_b64 v[58:61], v53 offset0:72 offset1:108
	ds_load_2addr_b64 v[62:65], v53 offset0:144 offset1:180
	;; [unrolled: 1-line block ×3, first 2 shown]
	s_wait_loadcnt_dscnt 0xd02
	v_mul_f32_e32 v98, v59, v71
	s_wait_loadcnt 0xc
	v_dual_mul_f32 v99, v58, v71 :: v_dual_mul_f32 v100, v61, v73
	v_mul_f32_e32 v71, v60, v73
	s_wait_loadcnt_dscnt 0xa01
	v_dual_mul_f32 v101, v63, v75 :: v_dual_mul_f32 v102, v65, v77
	s_wait_loadcnt_dscnt 0x800
	v_dual_mul_f32 v73, v62, v75 :: v_dual_mul_f32 v104, v69, v81
	v_mul_f32_e32 v75, v64, v77
	v_mul_f32_e32 v103, v67, v79
	;; [unrolled: 1-line block ×4, first 2 shown]
	v_fma_f32 v98, v58, v70, -v98
	v_fmac_f32_e32 v99, v59, v70
	v_fma_f32 v70, v60, v72, -v100
	v_fmac_f32_e32 v71, v61, v72
	;; [unrolled: 2-line block ×6, first 2 shown]
	ds_store_2addr_b64 v53, v[98:99], v[70:71] offset0:72 offset1:108
	ds_store_2addr_b64 v53, v[72:73], v[74:75] offset0:144 offset1:180
	;; [unrolled: 1-line block ×3, first 2 shown]
	ds_load_2addr_b64 v[58:61], v57 offset0:32 offset1:68
	s_wait_loadcnt_dscnt 0x700
	v_mul_f32_e32 v62, v59, v83
	s_wait_loadcnt 0x6
	v_dual_mul_f32 v63, v58, v83 :: v_dual_mul_f32 v64, v61, v85
	v_mul_f32_e32 v65, v60, v85
	s_delay_alu instid0(VALU_DEP_3) | instskip(NEXT) | instid1(VALU_DEP_3)
	v_fma_f32 v62, v58, v82, -v62
	v_fmac_f32_e32 v63, v59, v82
	s_delay_alu instid0(VALU_DEP_4) | instskip(NEXT) | instid1(VALU_DEP_4)
	v_fma_f32 v64, v60, v84, -v64
	v_dual_fmac_f32 v65, v61, v84 :: v_dual_add_nc_u32 v82, 0xc00, v53
	ds_store_2addr_b64 v57, v[62:63], v[64:65] offset0:32 offset1:68
	ds_load_2addr_b64 v[58:61], v57 offset0:104 offset1:140
	ds_load_2addr_b64 v[62:65], v57 offset0:176 offset1:212
	;; [unrolled: 1-line block ×3, first 2 shown]
	s_wait_loadcnt_dscnt 0x502
	v_mul_f32_e32 v70, v59, v87
	s_wait_loadcnt_dscnt 0x0
	v_dual_mul_f32 v80, v69, v97 :: v_dual_mul_f32 v71, v58, v87
	v_mul_f32_e32 v72, v61, v89
	v_dual_mul_f32 v73, v60, v89 :: v_dual_mul_f32 v74, v63, v91
	v_dual_mul_f32 v75, v62, v91 :: v_dual_mul_f32 v76, v65, v93
	;; [unrolled: 1-line block ×3, first 2 shown]
	v_mul_f32_e32 v79, v66, v95
	v_mul_f32_e32 v81, v68, v97
	v_fma_f32 v70, v58, v86, -v70
	v_fmac_f32_e32 v71, v59, v86
	v_fma_f32 v72, v60, v88, -v72
	v_fmac_f32_e32 v73, v61, v88
	v_fma_f32 v74, v62, v90, -v74
	v_fmac_f32_e32 v75, v63, v90
	v_fma_f32 v76, v64, v92, -v76
	v_fmac_f32_e32 v77, v65, v92
	v_fma_f32 v78, v66, v94, -v78
	v_fmac_f32_e32 v79, v67, v94
	v_fma_f32 v80, v68, v96, -v80
	v_fmac_f32_e32 v81, v69, v96
	ds_store_2addr_b64 v57, v[70:71], v[72:73] offset0:104 offset1:140
	ds_store_2addr_b64 v57, v[74:75], v[76:77] offset0:176 offset1:212
	;; [unrolled: 1-line block ×3, first 2 shown]
.LBB0_9:
	s_wait_alu 0xfffe
	s_or_b32 exec_lo, exec_lo, s6
	global_wb scope:SCOPE_SE
	s_wait_dscnt 0x0
	s_barrier_signal -1
	s_barrier_wait -1
	global_inv scope:SCOPE_SE
	s_and_saveexec_b32 s4, vcc_lo
	s_cbranch_execz .LBB0_11
; %bb.10:
	v_add_nc_u32_e32 v24, 0x800, v53
	v_add_nc_u32_e32 v32, 0xc00, v53
	ds_load_2addr_b64 v[36:39], v53 offset1:36
	ds_load_2addr_b64 v[44:47], v53 offset0:72 offset1:108
	ds_load_2addr_b64 v[40:43], v53 offset0:144 offset1:180
	;; [unrolled: 1-line block ×7, first 2 shown]
.LBB0_11:
	s_wait_alu 0xfffe
	s_or_b32 exec_lo, exec_lo, s4
	global_wb scope:SCOPE_SE
	s_wait_dscnt 0x0
	s_barrier_signal -1
	s_barrier_wait -1
	global_inv scope:SCOPE_SE
	s_and_saveexec_b32 s4, vcc_lo
	s_cbranch_execz .LBB0_13
; %bb.12:
	v_dual_sub_f32 v29, v45, v29 :: v_dual_sub_f32 v32, v20, v32
	v_dual_sub_f32 v57, v37, v17 :: v_dual_sub_f32 v24, v40, v24
	v_sub_f32_e32 v31, v47, v31
	v_dual_sub_f32 v17, v22, v34 :: v_dual_sub_f32 v34, v39, v19
	s_delay_alu instid0(VALU_DEP_3) | instskip(SKIP_1) | instid1(VALU_DEP_3)
	v_dual_sub_f32 v26, v42, v26 :: v_dual_sub_f32 v59, v57, v24
	v_sub_f32_e32 v58, v29, v32
	v_sub_f32_e32 v60, v31, v17
	v_dual_sub_f32 v35, v23, v35 :: v_dual_sub_f32 v30, v46, v30
	s_delay_alu instid0(VALU_DEP_4) | instskip(SKIP_2) | instid1(VALU_DEP_3)
	v_sub_f32_e32 v61, v34, v26
	v_dual_sub_f32 v27, v43, v27 :: v_dual_sub_f32 v62, v38, v18
	v_dual_sub_f32 v33, v21, v33 :: v_dual_sub_f32 v28, v44, v28
	v_dual_fmamk_f32 v65, v60, 0x3f3504f3, v61 :: v_dual_add_f32 v66, v35, v30
	s_delay_alu instid0(VALU_DEP_3) | instskip(SKIP_1) | instid1(VALU_DEP_3)
	v_dual_add_f32 v67, v27, v62 :: v_dual_sub_f32 v18, v41, v25
	v_dual_sub_f32 v16, v36, v16 :: v_dual_fmamk_f32 v63, v58, 0x3f3504f3, v59
	v_dual_add_f32 v64, v33, v28 :: v_dual_fmac_f32 v65, 0xbf3504f3, v66
	v_fma_f32 v20, v20, 2.0, -v32
	s_delay_alu instid0(VALU_DEP_3)
	v_add_f32_e32 v69, v18, v16
	v_fma_f32 v32, v39, 2.0, -v34
	v_fma_f32 v39, v46, 2.0, -v30
	;; [unrolled: 1-line block ×3, first 2 shown]
	v_fmac_f32_e32 v63, 0xbf3504f3, v64
	v_fma_f32 v25, v37, 2.0, -v57
	v_fma_f32 v18, v41, 2.0, -v18
	v_fmamk_f32 v68, v66, 0x3f3504f3, v67
	v_fma_f32 v37, v44, 2.0, -v28
	v_fma_f32 v27, v43, 2.0, -v27
	s_delay_alu instid0(VALU_DEP_4)
	v_dual_sub_f32 v44, v39, v17 :: v_dual_sub_f32 v41, v25, v18
	v_fma_f32 v46, v47, 2.0, -v31
	v_fma_f32 v17, v23, 2.0, -v35
	v_fmamk_f32 v70, v64, 0x3f3504f3, v69
	v_fma_f32 v35, v38, 2.0, -v62
	v_fma_f32 v22, v42, 2.0, -v26
	v_dual_fmac_f32 v68, 0x3f3504f3, v60 :: v_dual_sub_f32 v43, v32, v27
	v_dual_sub_f32 v20, v37, v20 :: v_dual_sub_f32 v47, v46, v17
	s_delay_alu instid0(VALU_DEP_3)
	v_sub_f32_e32 v71, v35, v22
	v_fmac_f32_e32 v70, 0x3f3504f3, v58
	v_fmamk_f32 v19, v65, 0x3f6c835e, v63
	v_fma_f32 v21, v21, 2.0, -v33
	v_fma_f32 v33, v36, 2.0, -v16
	;; [unrolled: 1-line block ×3, first 2 shown]
	v_fmamk_f32 v18, v68, 0x3f6c835e, v70
	v_fma_f32 v22, v29, 2.0, -v58
	v_fma_f32 v26, v28, 2.0, -v64
	;; [unrolled: 1-line block ×4, first 2 shown]
	v_dual_fmac_f32 v19, 0xbec3ef15, v68 :: v_dual_add_f32 v72, v47, v71
	v_fma_f32 v45, v45, 2.0, -v29
	v_fma_f32 v29, v30, 2.0, -v66
	;; [unrolled: 1-line block ×5, first 2 shown]
	v_fmamk_f32 v40, v22, 0xbf3504f3, v36
	v_fma_f32 v24, v39, 2.0, -v44
	v_fmamk_f32 v60, v27, 0xbf3504f3, v28
	v_dual_sub_f32 v42, v43, v44 :: v_dual_sub_f32 v21, v45, v21
	v_fmamk_f32 v62, v29, 0xbf3504f3, v57
	v_fmac_f32_e32 v40, 0xbf3504f3, v26
	s_delay_alu instid0(VALU_DEP_4)
	v_fmac_f32_e32 v60, 0xbf3504f3, v29
	v_sub_f32_e32 v38, v41, v20
	v_sub_f32_e32 v66, v33, v16
	v_fmac_f32_e32 v62, 0x3f3504f3, v27
	v_fmac_f32_e32 v18, 0x3ec3ef15, v65
	v_fmamk_f32 v27, v60, 0x3ec3ef15, v40
	v_fmamk_f32 v17, v42, 0x3f3504f3, v38
	v_add_f32_e32 v73, v21, v66
	v_fma_f32 v74, v25, 2.0, -v41
	v_fma_f32 v20, v37, 2.0, -v20
	;; [unrolled: 1-line block ×4, first 2 shown]
	v_fmamk_f32 v16, v72, 0x3f3504f3, v73
	v_fmamk_f32 v64, v26, 0xbf3504f3, v58
	v_fma_f32 v21, v45, 2.0, -v21
	v_fma_f32 v45, v35, 2.0, -v71
	;; [unrolled: 1-line block ×3, first 2 shown]
	v_fmac_f32_e32 v16, 0x3f3504f3, v42
	v_fma_f32 v59, v61, 2.0, -v65
	v_fma_f32 v61, v33, 2.0, -v66
	v_fmamk_f32 v33, v41, 0xbf3504f3, v37
	v_fma_f32 v42, v71, 2.0, -v72
	v_fma_f32 v23, v63, 2.0, -v19
	v_sub_f32_e32 v75, v45, v24
	v_fma_f32 v63, v32, 2.0, -v43
	v_fma_f32 v24, v46, 2.0, -v47
	;; [unrolled: 1-line block ×4, first 2 shown]
	v_fmac_f32_e32 v33, 0xbf3504f3, v42
	v_fma_f32 v36, v36, 2.0, -v40
	v_fma_f32 v28, v28, 2.0, -v60
	v_dual_sub_f32 v44, v74, v21 :: v_dual_fmamk_f32 v35, v59, 0xbec3ef15, v39
	v_sub_f32_e32 v46, v63, v24
	v_fmac_f32_e32 v17, 0xbf3504f3, v72
	s_delay_alu instid0(VALU_DEP_4) | instskip(NEXT) | instid1(VALU_DEP_4)
	v_fmamk_f32 v43, v28, 0xbf6c835e, v36
	v_dual_fmamk_f32 v34, v29, 0xbec3ef15, v32 :: v_dual_sub_f32 v25, v44, v75
	v_dual_sub_f32 v20, v61, v20 :: v_dual_fmac_f32 v35, 0xbf6c835e, v29
	s_delay_alu instid0(VALU_DEP_4) | instskip(NEXT) | instid1(VALU_DEP_3)
	v_fma_f32 v21, v38, 2.0, -v17
	v_fmac_f32_e32 v34, 0x3f6c835e, v59
	v_fma_f32 v59, v66, 2.0, -v73
	v_fma_f32 v29, v44, 2.0, -v25
	v_add_f32_e32 v24, v46, v20
	v_fma_f32 v44, v74, 2.0, -v44
	v_fma_f32 v38, v32, 2.0, -v34
	v_fmamk_f32 v32, v42, 0xbf3504f3, v59
	v_fma_f32 v46, v63, 2.0, -v46
	v_fmac_f32_e32 v64, 0x3f3504f3, v22
	v_fma_f32 v45, v45, 2.0, -v75
	v_fma_f32 v39, v39, 2.0, -v35
	s_delay_alu instid0(VALU_DEP_4) | instskip(SKIP_4) | instid1(VALU_DEP_4)
	v_dual_fmac_f32 v32, 0x3f3504f3, v41 :: v_dual_sub_f32 v41, v44, v46
	v_fmac_f32_e32 v27, 0xbf6c835e, v62
	v_fmamk_f32 v26, v62, 0x3ec3ef15, v64
	v_fma_f32 v37, v37, 2.0, -v33
	v_fma_f32 v22, v70, 2.0, -v18
	;; [unrolled: 1-line block ×6, first 2 shown]
	v_fmac_f32_e32 v26, 0x3f6c835e, v60
	s_delay_alu instid0(VALU_DEP_4) | instskip(NEXT) | instid1(VALU_DEP_4)
	v_fmac_f32_e32 v43, 0xbec3ef15, v40
	v_fmamk_f32 v42, v40, 0xbf6c835e, v57
	s_delay_alu instid0(VALU_DEP_4)
	v_sub_f32_e32 v40, v58, v45
	v_fma_f32 v45, v44, 2.0, -v41
	v_fma_f32 v30, v64, 2.0, -v26
	;; [unrolled: 1-line block ×3, first 2 shown]
	v_fmac_f32_e32 v42, 0x3ec3ef15, v28
	v_and_b32_e32 v28, 0xffff, v55
	v_fma_f32 v44, v58, 2.0, -v40
	v_fma_f32 v36, v59, 2.0, -v32
	s_delay_alu instid0(VALU_DEP_4) | instskip(NEXT) | instid1(VALU_DEP_4)
	v_fma_f32 v46, v57, 2.0, -v42
	v_lshlrev_b32_e32 v55, 3, v28
	v_fma_f32 v28, v20, 2.0, -v24
	v_fma_f32 v20, v73, 2.0, -v16
	ds_store_b128 v55, v[44:47]
	ds_store_b128 v55, v[36:39] offset:16
	ds_store_b128 v55, v[28:31] offset:32
	;; [unrolled: 1-line block ×7, first 2 shown]
.LBB0_13:
	s_wait_alu 0xfffe
	s_or_b32 exec_lo, exec_lo, s4
	global_wb scope:SCOPE_SE
	s_wait_dscnt 0x0
	s_barrier_signal -1
	s_barrier_wait -1
	global_inv scope:SCOPE_SE
	ds_load_2addr_b64 v[18:21], v53 offset1:96
	v_add_nc_u32_e32 v16, 0x800, v53
	s_wait_dscnt 0x0
	v_mul_f32_e32 v30, v5, v21
	v_add_nc_u32_e32 v17, 0x400, v53
	v_mul_f32_e32 v5, v5, v20
	s_delay_alu instid0(VALU_DEP_3)
	v_fmac_f32_e32 v30, v4, v20
	ds_load_2addr_b64 v[22:25], v17 offset0:64 offset1:160
	ds_load_2addr_b64 v[26:29], v16 offset0:128 offset1:224
	v_fma_f32 v4, v4, v21, -v5
	global_wb scope:SCOPE_SE
	s_wait_dscnt 0x0
	s_barrier_signal -1
	s_barrier_wait -1
	global_inv scope:SCOPE_SE
	v_mul_f32_e32 v5, v7, v23
	v_dual_mul_f32 v7, v7, v22 :: v_dual_mul_f32 v20, v1, v25
	v_mul_f32_e32 v31, v50, v29
	v_dual_mul_f32 v21, v3, v27 :: v_dual_mul_f32 v32, v50, v28
	s_delay_alu instid0(VALU_DEP_3) | instskip(NEXT) | instid1(VALU_DEP_3)
	v_dual_mul_f32 v3, v3, v26 :: v_dual_fmac_f32 v20, v0, v24
	v_fmac_f32_e32 v31, v49, v28
	s_delay_alu instid0(VALU_DEP_1) | instskip(NEXT) | instid1(VALU_DEP_1)
	v_dual_mul_f32 v1, v1, v24 :: v_dual_add_f32 v24, v20, v31
	v_fma_f32 v0, v0, v25, -v1
	v_fmac_f32_e32 v21, v2, v26
	v_fmac_f32_e32 v5, v6, v22
	v_fma_f32 v6, v6, v23, -v7
	v_fma_f32 v1, v2, v27, -v3
	;; [unrolled: 1-line block ×3, first 2 shown]
	v_add_f32_e32 v25, v4, v0
	v_add_f32_e32 v7, v5, v21
	s_delay_alu instid0(VALU_DEP_4) | instskip(SKIP_4) | instid1(VALU_DEP_3)
	v_dual_add_f32 v23, v19, v6 :: v_dual_sub_f32 v22, v6, v1
	v_add_f32_e32 v6, v6, v1
	v_dual_add_f32 v26, v0, v2 :: v_dual_add_f32 v3, v18, v5
	v_sub_f32_e32 v0, v0, v2
	v_fma_f32 v7, -0.5, v7, v18
	v_fmac_f32_e32 v4, -0.5, v26
	s_delay_alu instid0(VALU_DEP_4)
	v_dual_add_f32 v18, v3, v21 :: v_dual_add_f32 v3, v30, v20
	v_dual_fmac_f32 v30, -0.5, v24 :: v_dual_sub_f32 v5, v5, v21
	v_fma_f32 v21, -0.5, v6, v19
	v_add_f32_e32 v19, v23, v1
	v_sub_f32_e32 v1, v20, v31
	v_fmamk_f32 v23, v22, 0xbf5db3d7, v7
	v_dual_fmac_f32 v7, 0x3f5db3d7, v22 :: v_dual_add_f32 v6, v3, v31
	v_fmamk_f32 v22, v5, 0x3f5db3d7, v21
	v_fmac_f32_e32 v21, 0xbf5db3d7, v5
	v_fmamk_f32 v5, v1, 0x3f5db3d7, v4
	s_delay_alu instid0(VALU_DEP_1)
	v_mul_f32_e32 v20, 0xbf5db3d7, v5
	v_fmac_f32_e32 v4, 0xbf5db3d7, v1
	v_fmamk_f32 v1, v0, 0xbf5db3d7, v30
	v_fmac_f32_e32 v30, 0x3f5db3d7, v0
	v_add_f32_e32 v0, v18, v6
	v_mul_f32_e32 v26, 0.5, v5
	v_mul_f32_e32 v24, 0xbf5db3d7, v4
	v_dual_fmac_f32 v20, 0.5, v1 :: v_dual_mul_f32 v27, -0.5, v4
	v_add_f32_e32 v25, v25, v2
	v_sub_f32_e32 v6, v18, v6
	s_delay_alu instid0(VALU_DEP_4) | instskip(NEXT) | instid1(VALU_DEP_4)
	v_fmac_f32_e32 v24, -0.5, v30
	v_add_f32_e32 v2, v23, v20
	v_dual_fmac_f32 v26, 0x3f5db3d7, v1 :: v_dual_fmac_f32 v27, 0x3f5db3d7, v30
	v_add_f32_e32 v1, v19, v25
	s_delay_alu instid0(VALU_DEP_4) | instskip(NEXT) | instid1(VALU_DEP_3)
	v_add_f32_e32 v4, v7, v24
	v_dual_sub_f32 v18, v23, v20 :: v_dual_add_f32 v3, v22, v26
	s_delay_alu instid0(VALU_DEP_4)
	v_dual_add_f32 v5, v21, v27 :: v_dual_sub_f32 v20, v7, v24
	v_sub_f32_e32 v7, v19, v25
	v_sub_f32_e32 v19, v22, v26
	;; [unrolled: 1-line block ×3, first 2 shown]
	ds_store_2addr_b64 v56, v[0:1], v[2:3] offset1:16
	ds_store_2addr_b64 v56, v[4:5], v[6:7] offset0:32 offset1:48
	ds_store_2addr_b64 v56, v[18:19], v[20:21] offset0:64 offset1:80
	global_wb scope:SCOPE_SE
	s_wait_dscnt 0x0
	s_barrier_signal -1
	s_barrier_wait -1
	global_inv scope:SCOPE_SE
	ds_load_2addr_b64 v[0:3], v53 offset1:96
	ds_load_2addr_b64 v[4:7], v17 offset0:64 offset1:160
	ds_load_2addr_b64 v[18:21], v16 offset0:128 offset1:224
	s_wait_dscnt 0x2
	v_mul_f32_e32 v22, v13, v3
	v_mul_f32_e32 v13, v13, v2
	s_wait_dscnt 0x1
	s_delay_alu instid0(VALU_DEP_2) | instskip(SKIP_2) | instid1(VALU_DEP_2)
	v_dual_mul_f32 v23, v15, v5 :: v_dual_fmac_f32 v22, v12, v2
	v_mul_f32_e32 v2, v15, v4
	s_wait_dscnt 0x0
	v_dual_fmac_f32 v23, v14, v4 :: v_dual_mul_f32 v4, v11, v19
	v_fma_f32 v3, v12, v3, -v13
	v_mul_f32_e32 v12, v9, v7
	v_fma_f32 v2, v14, v5, -v2
	s_delay_alu instid0(VALU_DEP_4) | instskip(SKIP_1) | instid1(VALU_DEP_4)
	v_fmac_f32_e32 v4, v10, v18
	v_mul_f32_e32 v5, v9, v6
	v_fmac_f32_e32 v12, v8, v6
	v_dual_mul_f32 v6, v11, v18 :: v_dual_mul_f32 v9, v52, v21
	s_delay_alu instid0(VALU_DEP_3) | instskip(SKIP_1) | instid1(VALU_DEP_3)
	v_fma_f32 v5, v8, v7, -v5
	v_mul_f32_e32 v7, v52, v20
	v_fma_f32 v6, v10, v19, -v6
	v_add_f32_e32 v8, v23, v4
	v_dual_fmac_f32 v9, v51, v20 :: v_dual_add_f32 v10, v0, v23
	s_delay_alu instid0(VALU_DEP_4) | instskip(NEXT) | instid1(VALU_DEP_3)
	v_fma_f32 v7, v51, v21, -v7
	v_fma_f32 v13, -0.5, v8, v0
	v_sub_f32_e32 v0, v2, v6
	v_add_f32_e32 v11, v2, v6
	v_add_f32_e32 v8, v10, v4
	;; [unrolled: 1-line block ×3, first 2 shown]
	s_delay_alu instid0(VALU_DEP_4) | instskip(NEXT) | instid1(VALU_DEP_4)
	v_fmamk_f32 v10, v0, 0xbf5db3d7, v13
	v_fma_f32 v11, -0.5, v11, v1
	v_sub_f32_e32 v1, v23, v4
	v_dual_fmac_f32 v13, 0x3f5db3d7, v0 :: v_dual_add_f32 v0, v5, v7
	s_delay_alu instid0(VALU_DEP_2) | instskip(SKIP_1) | instid1(VALU_DEP_3)
	v_dual_add_f32 v4, v3, v5 :: v_dual_fmamk_f32 v15, v1, 0x3f5db3d7, v11
	v_dual_fmac_f32 v11, 0xbf5db3d7, v1 :: v_dual_add_f32 v14, v2, v6
	v_dual_fmac_f32 v3, -0.5, v0 :: v_dual_sub_f32 v0, v12, v9
	v_add_f32_e32 v2, v12, v9
	s_delay_alu instid0(VALU_DEP_2) | instskip(SKIP_2) | instid1(VALU_DEP_2)
	v_fmamk_f32 v1, v0, 0x3f5db3d7, v3
	v_fmac_f32_e32 v3, 0xbf5db3d7, v0
	v_add_f32_e32 v6, v22, v12
	v_dual_fmac_f32 v22, -0.5, v2 :: v_dual_mul_f32 v19, -0.5, v3
	s_delay_alu instid0(VALU_DEP_2) | instskip(SKIP_2) | instid1(VALU_DEP_3)
	v_add_f32_e32 v6, v6, v9
	v_dual_mul_f32 v9, 0xbf5db3d7, v1 :: v_dual_sub_f32 v2, v5, v7
	v_add_f32_e32 v7, v4, v7
	v_add_f32_e32 v0, v8, v6
	s_delay_alu instid0(VALU_DEP_3) | instskip(NEXT) | instid1(VALU_DEP_1)
	v_dual_sub_f32 v6, v8, v6 :: v_dual_fmamk_f32 v5, v2, 0xbf5db3d7, v22
	v_dual_fmac_f32 v9, 0.5, v5 :: v_dual_fmac_f32 v22, 0x3f5db3d7, v2
	s_delay_alu instid0(VALU_DEP_4) | instskip(SKIP_1) | instid1(VALU_DEP_3)
	v_dual_mul_f32 v18, 0.5, v1 :: v_dual_add_f32 v1, v14, v7
	v_sub_f32_e32 v7, v14, v7
	v_dual_sub_f32 v8, v10, v9 :: v_dual_fmac_f32 v19, 0x3f5db3d7, v22
	s_delay_alu instid0(VALU_DEP_3) | instskip(SKIP_1) | instid1(VALU_DEP_3)
	v_fmac_f32_e32 v18, 0x3f5db3d7, v5
	v_mul_f32_e32 v12, 0xbf5db3d7, v3
	v_add_f32_e32 v5, v11, v19
	s_delay_alu instid0(VALU_DEP_3) | instskip(NEXT) | instid1(VALU_DEP_3)
	v_add_f32_e32 v3, v15, v18
	v_dual_fmac_f32 v12, -0.5, v22 :: v_dual_sub_f32 v11, v11, v19
	v_dual_add_f32 v2, v10, v9 :: v_dual_sub_f32 v9, v15, v18
	s_delay_alu instid0(VALU_DEP_2)
	v_add_f32_e32 v4, v13, v12
	v_sub_f32_e32 v10, v13, v12
	ds_store_2addr_b64 v53, v[0:1], v[2:3] offset1:96
	ds_store_2addr_b64 v17, v[4:5], v[6:7] offset0:64 offset1:160
	ds_store_2addr_b64 v16, v[8:9], v[10:11] offset0:128 offset1:224
	global_wb scope:SCOPE_SE
	s_wait_dscnt 0x0
	s_barrier_signal -1
	s_barrier_wait -1
	global_inv scope:SCOPE_SE
	s_and_b32 exec_lo, exec_lo, vcc_lo
	s_cbranch_execz .LBB0_15
; %bb.14:
	s_clause 0xb
	global_load_b64 v[21:22], v53, s[8:9]
	global_load_b64 v[23:24], v53, s[8:9] offset:288
	global_load_b64 v[25:26], v53, s[8:9] offset:576
	;; [unrolled: 1-line block ×11, first 2 shown]
	v_mad_co_u64_u32 v[12:13], null, s2, v48, 0
	v_mad_co_u64_u32 v[45:46], null, s0, v54, 0
	s_delay_alu instid0(VALU_DEP_2) | instskip(NEXT) | instid1(VALU_DEP_1)
	v_mov_b32_e32 v0, v13
	v_mad_co_u64_u32 v[8:9], null, s3, v48, v[0:1]
	ds_load_b64 v[47:48], v53
	ds_load_2addr_b64 v[0:3], v53 offset0:36 offset1:72
	v_mov_b32_e32 v4, v46
	s_mov_b32 s2, 0x1c71c71c
	s_mov_b32 s3, 0x3f5c71c7
	s_delay_alu instid0(VALU_DEP_1)
	v_mad_co_u64_u32 v[14:15], null, s1, v54, v[4:5]
	v_mov_b32_e32 v13, v8
	ds_load_2addr_b64 v[4:7], v53 offset0:108 offset1:144
	ds_load_2addr_b64 v[8:11], v53 offset0:180 offset1:216
	s_mul_u64 s[0:1], s[0:1], 0x120
	v_lshlrev_b64_e32 v[49:50], 3, v[12:13]
	v_mov_b32_e32 v46, v14
	ds_load_2addr_b64 v[12:15], v17 offset0:124 offset1:196
	ds_load_b64 v[51:52], v53 offset:2304
	ds_load_2addr_b64 v[17:20], v16 offset0:104 offset1:140
	v_add_co_u32 v54, vcc_lo, s12, v49
	v_add_co_ci_u32_e32 v55, vcc_lo, s13, v50, vcc_lo
	s_wait_loadcnt_dscnt 0xb06
	v_mul_f32_e32 v49, v48, v22
	v_mul_f32_e32 v22, v47, v22
	s_wait_loadcnt_dscnt 0xa05
	v_mul_f32_e32 v50, v1, v24
	s_wait_loadcnt 0x9
	v_mul_f32_e32 v56, v3, v26
	s_wait_loadcnt_dscnt 0x804
	v_dual_mul_f32 v26, v2, v26 :: v_dual_mul_f32 v57, v5, v28
	s_wait_loadcnt 0x7
	v_mul_f32_e32 v58, v7, v30
	s_wait_loadcnt_dscnt 0x603
	v_dual_mul_f32 v30, v6, v30 :: v_dual_mul_f32 v59, v9, v32
	s_wait_loadcnt_dscnt 0x202
	v_mul_f32_e32 v63, v15, v40
	v_fmac_f32_e32 v57, v4, v27
	v_mul_f32_e32 v24, v0, v24
	s_wait_loadcnt_dscnt 0x0
	v_mul_f32_e32 v65, v20, v44
	v_mul_f32_e32 v28, v4, v28
	v_dual_mul_f32 v32, v8, v32 :: v_dual_fmac_f32 v49, v47, v21
	v_fma_f32 v21, v21, v48, -v22
	v_dual_mul_f32 v60, v11, v34 :: v_dual_fmac_f32 v59, v8, v31
	v_dual_mul_f32 v61, v13, v36 :: v_dual_mul_f32 v34, v10, v34
	v_fmac_f32_e32 v50, v0, v23
	v_fmac_f32_e32 v63, v14, v39
	v_fma_f32 v22, v23, v1, -v24
	s_delay_alu instid0(VALU_DEP_4)
	v_fmac_f32_e32 v61, v12, v35
	v_mul_f32_e32 v36, v12, v36
	v_fmac_f32_e32 v56, v2, v25
	v_fma_f32 v23, v25, v3, -v26
	v_mul_f32_e32 v62, v52, v38
	v_mul_f32_e32 v38, v51, v38
	v_dual_mul_f32 v40, v14, v40 :: v_dual_fmac_f32 v65, v19, v43
	v_fma_f32 v24, v27, v5, -v28
	v_mul_f32_e32 v64, v18, v42
	v_mul_f32_e32 v42, v17, v42
	;; [unrolled: 1-line block ×3, first 2 shown]
	v_fmac_f32_e32 v58, v6, v29
	v_fma_f32 v25, v29, v7, -v30
	v_fma_f32 v26, v31, v9, -v32
	v_cvt_f64_f32_e32 v[0:1], v49
	v_cvt_f64_f32_e32 v[2:3], v21
	v_fmac_f32_e32 v60, v10, v33
	v_fma_f32 v27, v33, v11, -v34
	v_cvt_f64_f32_e32 v[4:5], v50
	v_cvt_f64_f32_e32 v[6:7], v22
	v_fma_f32 v31, v35, v13, -v36
	v_cvt_f64_f32_e32 v[8:9], v56
	v_cvt_f64_f32_e32 v[10:11], v23
	v_fmac_f32_e32 v62, v51, v37
	v_fma_f32 v35, v37, v52, -v38
	v_fma_f32 v39, v39, v15, -v40
	v_cvt_f64_f32_e32 v[12:13], v57
	v_cvt_f64_f32_e32 v[14:15], v24
	v_fmac_f32_e32 v64, v17, v41
	v_fma_f32 v47, v41, v18, -v42
	v_fma_f32 v51, v43, v20, -v44
	v_cvt_f64_f32_e32 v[17:18], v58
	v_cvt_f64_f32_e32 v[19:20], v25
	;; [unrolled: 1-line block ×16, first 2 shown]
	v_lshlrev_b64_e32 v[45:46], 3, v[45:46]
	s_wait_alu 0xfffe
	v_mul_f64_e32 v[0:1], s[2:3], v[0:1]
	v_mul_f64_e32 v[2:3], s[2:3], v[2:3]
	s_delay_alu instid0(VALU_DEP_3)
	v_add_co_u32 v45, vcc_lo, v54, v45
	v_mul_f64_e32 v[4:5], s[2:3], v[4:5]
	v_mul_f64_e32 v[6:7], s[2:3], v[6:7]
	s_wait_alu 0xfffd
	v_add_co_ci_u32_e32 v46, vcc_lo, v55, v46, vcc_lo
	v_mul_f64_e32 v[8:9], s[2:3], v[8:9]
	v_mul_f64_e32 v[10:11], s[2:3], v[10:11]
	v_add_co_u32 v51, vcc_lo, v45, s0
	v_mul_f64_e32 v[12:13], s[2:3], v[12:13]
	v_mul_f64_e32 v[14:15], s[2:3], v[14:15]
	s_wait_alu 0xfffd
	v_add_co_ci_u32_e32 v52, vcc_lo, s1, v46, vcc_lo
	v_add_co_u32 v54, vcc_lo, v51, s0
	v_mul_f64_e32 v[17:18], s[2:3], v[17:18]
	v_mul_f64_e32 v[19:20], s[2:3], v[19:20]
	;; [unrolled: 1-line block ×16, first 2 shown]
	s_wait_alu 0xfffd
	v_add_co_ci_u32_e32 v55, vcc_lo, s1, v52, vcc_lo
	v_add_co_u32 v56, vcc_lo, v54, s0
	v_cvt_f32_f64_e32 v0, v[0:1]
	s_wait_alu 0xfffd
	s_delay_alu instid0(VALU_DEP_3)
	v_add_co_ci_u32_e32 v57, vcc_lo, s1, v55, vcc_lo
	v_cvt_f32_f64_e32 v1, v[2:3]
	v_add_co_u32 v58, vcc_lo, v56, s0
	v_cvt_f32_f64_e32 v2, v[4:5]
	v_cvt_f32_f64_e32 v3, v[6:7]
	;; [unrolled: 1-line block ×4, first 2 shown]
	s_wait_alu 0xfffd
	v_add_co_ci_u32_e32 v59, vcc_lo, s1, v57, vcc_lo
	v_cvt_f32_f64_e32 v6, v[12:13]
	v_cvt_f32_f64_e32 v7, v[14:15]
	v_add_co_u32 v60, vcc_lo, v58, s0
	s_wait_alu 0xfffd
	v_add_co_ci_u32_e32 v61, vcc_lo, s1, v59, vcc_lo
	v_cvt_f32_f64_e32 v8, v[17:18]
	v_cvt_f32_f64_e32 v9, v[19:20]
	;; [unrolled: 1-line block ×16, first 2 shown]
	v_add_co_u32 v25, vcc_lo, v60, s0
	s_wait_alu 0xfffd
	v_add_co_ci_u32_e32 v26, vcc_lo, s1, v61, vcc_lo
	s_delay_alu instid0(VALU_DEP_2) | instskip(SKIP_1) | instid1(VALU_DEP_2)
	v_add_co_u32 v27, vcc_lo, v25, s0
	s_wait_alu 0xfffd
	v_add_co_ci_u32_e32 v28, vcc_lo, s1, v26, vcc_lo
	s_delay_alu instid0(VALU_DEP_2) | instskip(SKIP_1) | instid1(VALU_DEP_2)
	;; [unrolled: 4-line block ×5, first 2 shown]
	v_add_co_u32 v35, vcc_lo, v33, s0
	s_wait_alu 0xfffd
	v_add_co_ci_u32_e32 v36, vcc_lo, s1, v34, vcc_lo
	s_clause 0x4
	global_store_b64 v[45:46], v[0:1], off
	global_store_b64 v[51:52], v[2:3], off
	;; [unrolled: 1-line block ×12, first 2 shown]
	global_load_b64 v[4:5], v53, s[8:9] offset:3456
	ds_load_2addr_b64 v[0:3], v16 offset0:176 offset1:212
	s_wait_loadcnt_dscnt 0x0
	v_mul_f32_e32 v6, v1, v5
	v_mul_f32_e32 v5, v0, v5
	s_delay_alu instid0(VALU_DEP_2) | instskip(NEXT) | instid1(VALU_DEP_2)
	v_fmac_f32_e32 v6, v0, v4
	v_fma_f32 v4, v4, v1, -v5
	s_delay_alu instid0(VALU_DEP_2) | instskip(NEXT) | instid1(VALU_DEP_2)
	v_cvt_f64_f32_e32 v[0:1], v6
	v_cvt_f64_f32_e32 v[4:5], v4
	s_delay_alu instid0(VALU_DEP_2) | instskip(NEXT) | instid1(VALU_DEP_2)
	v_mul_f64_e32 v[0:1], s[2:3], v[0:1]
	v_mul_f64_e32 v[4:5], s[2:3], v[4:5]
	s_delay_alu instid0(VALU_DEP_2) | instskip(NEXT) | instid1(VALU_DEP_2)
	v_cvt_f32_f64_e32 v0, v[0:1]
	v_cvt_f32_f64_e32 v1, v[4:5]
	v_add_co_u32 v4, vcc_lo, v35, s0
	s_wait_alu 0xfffd
	v_add_co_ci_u32_e32 v5, vcc_lo, s1, v36, vcc_lo
	global_store_b64 v[4:5], v[0:1], off
	global_load_b64 v[0:1], v53, s[8:9] offset:3744
	v_add_co_u32 v4, vcc_lo, v4, s0
	s_wait_alu 0xfffd
	v_add_co_ci_u32_e32 v5, vcc_lo, s1, v5, vcc_lo
	s_wait_loadcnt 0x0
	v_mul_f32_e32 v6, v3, v1
	v_mul_f32_e32 v1, v2, v1
	s_delay_alu instid0(VALU_DEP_2) | instskip(NEXT) | instid1(VALU_DEP_2)
	v_fmac_f32_e32 v6, v2, v0
	v_fma_f32 v2, v0, v3, -v1
	s_delay_alu instid0(VALU_DEP_2) | instskip(NEXT) | instid1(VALU_DEP_2)
	v_cvt_f64_f32_e32 v[0:1], v6
	v_cvt_f64_f32_e32 v[2:3], v2
	s_delay_alu instid0(VALU_DEP_2) | instskip(NEXT) | instid1(VALU_DEP_2)
	v_mul_f64_e32 v[0:1], s[2:3], v[0:1]
	v_mul_f64_e32 v[2:3], s[2:3], v[2:3]
	s_delay_alu instid0(VALU_DEP_2) | instskip(NEXT) | instid1(VALU_DEP_2)
	v_cvt_f32_f64_e32 v0, v[0:1]
	v_cvt_f32_f64_e32 v1, v[2:3]
	global_store_b64 v[4:5], v[0:1], off
	global_load_b64 v[6:7], v53, s[8:9] offset:4032
	v_add_nc_u32_e32 v0, 0xc00, v53
	v_add_co_u32 v4, vcc_lo, v4, s0
	s_wait_alu 0xfffd
	v_add_co_ci_u32_e32 v5, vcc_lo, s1, v5, vcc_lo
	ds_load_2addr_b64 v[0:3], v0 offset0:120 offset1:156
	s_wait_loadcnt_dscnt 0x0
	v_mul_f32_e32 v8, v1, v7
	v_mul_f32_e32 v7, v0, v7
	s_delay_alu instid0(VALU_DEP_2) | instskip(NEXT) | instid1(VALU_DEP_2)
	v_fmac_f32_e32 v8, v0, v6
	v_fma_f32 v6, v6, v1, -v7
	s_delay_alu instid0(VALU_DEP_2) | instskip(NEXT) | instid1(VALU_DEP_2)
	v_cvt_f64_f32_e32 v[0:1], v8
	v_cvt_f64_f32_e32 v[6:7], v6
	s_delay_alu instid0(VALU_DEP_2) | instskip(NEXT) | instid1(VALU_DEP_2)
	v_mul_f64_e32 v[0:1], s[2:3], v[0:1]
	v_mul_f64_e32 v[6:7], s[2:3], v[6:7]
	s_delay_alu instid0(VALU_DEP_2) | instskip(NEXT) | instid1(VALU_DEP_2)
	v_cvt_f32_f64_e32 v0, v[0:1]
	v_cvt_f32_f64_e32 v1, v[6:7]
	global_store_b64 v[4:5], v[0:1], off
	global_load_b64 v[0:1], v53, s[8:9] offset:4320
	s_wait_loadcnt 0x0
	v_mul_f32_e32 v6, v3, v1
	v_mul_f32_e32 v1, v2, v1
	s_delay_alu instid0(VALU_DEP_2) | instskip(NEXT) | instid1(VALU_DEP_2)
	v_fmac_f32_e32 v6, v2, v0
	v_fma_f32 v2, v0, v3, -v1
	s_delay_alu instid0(VALU_DEP_2) | instskip(NEXT) | instid1(VALU_DEP_2)
	v_cvt_f64_f32_e32 v[0:1], v6
	v_cvt_f64_f32_e32 v[2:3], v2
	s_delay_alu instid0(VALU_DEP_2) | instskip(NEXT) | instid1(VALU_DEP_2)
	v_mul_f64_e32 v[0:1], s[2:3], v[0:1]
	v_mul_f64_e32 v[2:3], s[2:3], v[2:3]
	s_delay_alu instid0(VALU_DEP_2) | instskip(NEXT) | instid1(VALU_DEP_2)
	v_cvt_f32_f64_e32 v0, v[0:1]
	v_cvt_f32_f64_e32 v1, v[2:3]
	v_add_co_u32 v2, vcc_lo, v4, s0
	s_wait_alu 0xfffd
	v_add_co_ci_u32_e32 v3, vcc_lo, s1, v5, vcc_lo
	global_store_b64 v[2:3], v[0:1], off
.LBB0_15:
	s_nop 0
	s_sendmsg sendmsg(MSG_DEALLOC_VGPRS)
	s_endpgm
	.section	.rodata,"a",@progbits
	.p2align	6, 0x0
	.amdhsa_kernel bluestein_single_back_len576_dim1_sp_op_CI_CI
		.amdhsa_group_segment_fixed_size 4608
		.amdhsa_private_segment_fixed_size 0
		.amdhsa_kernarg_size 104
		.amdhsa_user_sgpr_count 2
		.amdhsa_user_sgpr_dispatch_ptr 0
		.amdhsa_user_sgpr_queue_ptr 0
		.amdhsa_user_sgpr_kernarg_segment_ptr 1
		.amdhsa_user_sgpr_dispatch_id 0
		.amdhsa_user_sgpr_private_segment_size 0
		.amdhsa_wavefront_size32 1
		.amdhsa_uses_dynamic_stack 0
		.amdhsa_enable_private_segment 0
		.amdhsa_system_sgpr_workgroup_id_x 1
		.amdhsa_system_sgpr_workgroup_id_y 0
		.amdhsa_system_sgpr_workgroup_id_z 0
		.amdhsa_system_sgpr_workgroup_info 0
		.amdhsa_system_vgpr_workitem_id 0
		.amdhsa_next_free_vgpr 105
		.amdhsa_next_free_sgpr 14
		.amdhsa_reserve_vcc 1
		.amdhsa_float_round_mode_32 0
		.amdhsa_float_round_mode_16_64 0
		.amdhsa_float_denorm_mode_32 3
		.amdhsa_float_denorm_mode_16_64 3
		.amdhsa_fp16_overflow 0
		.amdhsa_workgroup_processor_mode 1
		.amdhsa_memory_ordered 1
		.amdhsa_forward_progress 0
		.amdhsa_round_robin_scheduling 0
		.amdhsa_exception_fp_ieee_invalid_op 0
		.amdhsa_exception_fp_denorm_src 0
		.amdhsa_exception_fp_ieee_div_zero 0
		.amdhsa_exception_fp_ieee_overflow 0
		.amdhsa_exception_fp_ieee_underflow 0
		.amdhsa_exception_fp_ieee_inexact 0
		.amdhsa_exception_int_div_zero 0
	.end_amdhsa_kernel
	.text
.Lfunc_end0:
	.size	bluestein_single_back_len576_dim1_sp_op_CI_CI, .Lfunc_end0-bluestein_single_back_len576_dim1_sp_op_CI_CI
                                        ; -- End function
	.section	.AMDGPU.csdata,"",@progbits
; Kernel info:
; codeLenInByte = 8704
; NumSgprs: 16
; NumVgprs: 105
; ScratchSize: 0
; MemoryBound: 0
; FloatMode: 240
; IeeeMode: 1
; LDSByteSize: 4608 bytes/workgroup (compile time only)
; SGPRBlocks: 1
; VGPRBlocks: 13
; NumSGPRsForWavesPerEU: 16
; NumVGPRsForWavesPerEU: 105
; Occupancy: 12
; WaveLimiterHint : 1
; COMPUTE_PGM_RSRC2:SCRATCH_EN: 0
; COMPUTE_PGM_RSRC2:USER_SGPR: 2
; COMPUTE_PGM_RSRC2:TRAP_HANDLER: 0
; COMPUTE_PGM_RSRC2:TGID_X_EN: 1
; COMPUTE_PGM_RSRC2:TGID_Y_EN: 0
; COMPUTE_PGM_RSRC2:TGID_Z_EN: 0
; COMPUTE_PGM_RSRC2:TIDIG_COMP_CNT: 0
	.text
	.p2alignl 7, 3214868480
	.fill 96, 4, 3214868480
	.type	__hip_cuid_ed3a4d0ac828d331,@object ; @__hip_cuid_ed3a4d0ac828d331
	.section	.bss,"aw",@nobits
	.globl	__hip_cuid_ed3a4d0ac828d331
__hip_cuid_ed3a4d0ac828d331:
	.byte	0                               ; 0x0
	.size	__hip_cuid_ed3a4d0ac828d331, 1

	.ident	"AMD clang version 19.0.0git (https://github.com/RadeonOpenCompute/llvm-project roc-6.4.0 25133 c7fe45cf4b819c5991fe208aaa96edf142730f1d)"
	.section	".note.GNU-stack","",@progbits
	.addrsig
	.addrsig_sym __hip_cuid_ed3a4d0ac828d331
	.amdgpu_metadata
---
amdhsa.kernels:
  - .args:
      - .actual_access:  read_only
        .address_space:  global
        .offset:         0
        .size:           8
        .value_kind:     global_buffer
      - .actual_access:  read_only
        .address_space:  global
        .offset:         8
        .size:           8
        .value_kind:     global_buffer
      - .actual_access:  read_only
        .address_space:  global
        .offset:         16
        .size:           8
        .value_kind:     global_buffer
      - .actual_access:  read_only
        .address_space:  global
        .offset:         24
        .size:           8
        .value_kind:     global_buffer
      - .actual_access:  read_only
        .address_space:  global
        .offset:         32
        .size:           8
        .value_kind:     global_buffer
      - .offset:         40
        .size:           8
        .value_kind:     by_value
      - .address_space:  global
        .offset:         48
        .size:           8
        .value_kind:     global_buffer
      - .address_space:  global
        .offset:         56
        .size:           8
        .value_kind:     global_buffer
      - .address_space:  global
        .offset:         64
        .size:           8
        .value_kind:     global_buffer
      - .address_space:  global
        .offset:         72
        .size:           8
        .value_kind:     global_buffer
      - .offset:         80
        .size:           4
        .value_kind:     by_value
      - .address_space:  global
        .offset:         88
        .size:           8
        .value_kind:     global_buffer
      - .address_space:  global
        .offset:         96
        .size:           8
        .value_kind:     global_buffer
    .group_segment_fixed_size: 4608
    .kernarg_segment_align: 8
    .kernarg_segment_size: 104
    .language:       OpenCL C
    .language_version:
      - 2
      - 0
    .max_flat_workgroup_size: 96
    .name:           bluestein_single_back_len576_dim1_sp_op_CI_CI
    .private_segment_fixed_size: 0
    .sgpr_count:     16
    .sgpr_spill_count: 0
    .symbol:         bluestein_single_back_len576_dim1_sp_op_CI_CI.kd
    .uniform_work_group_size: 1
    .uses_dynamic_stack: false
    .vgpr_count:     105
    .vgpr_spill_count: 0
    .wavefront_size: 32
    .workgroup_processor_mode: 1
amdhsa.target:   amdgcn-amd-amdhsa--gfx1201
amdhsa.version:
  - 1
  - 2
...

	.end_amdgpu_metadata
